;; amdgpu-corpus repo=ROCm/rocFFT kind=compiled arch=gfx1201 opt=O3
	.text
	.amdgcn_target "amdgcn-amd-amdhsa--gfx1201"
	.amdhsa_code_object_version 6
	.protected	fft_rtc_fwd_len264_factors_8_3_11_wgs_231_tpt_33_sp_ip_CI_unitstride_sbrr_R2C_dirReg ; -- Begin function fft_rtc_fwd_len264_factors_8_3_11_wgs_231_tpt_33_sp_ip_CI_unitstride_sbrr_R2C_dirReg
	.globl	fft_rtc_fwd_len264_factors_8_3_11_wgs_231_tpt_33_sp_ip_CI_unitstride_sbrr_R2C_dirReg
	.p2align	8
	.type	fft_rtc_fwd_len264_factors_8_3_11_wgs_231_tpt_33_sp_ip_CI_unitstride_sbrr_R2C_dirReg,@function
fft_rtc_fwd_len264_factors_8_3_11_wgs_231_tpt_33_sp_ip_CI_unitstride_sbrr_R2C_dirReg: ; @fft_rtc_fwd_len264_factors_8_3_11_wgs_231_tpt_33_sp_ip_CI_unitstride_sbrr_R2C_dirReg
; %bb.0:
	s_load_b128 s[4:7], s[0:1], 0x0
	v_mul_u32_u24_e32 v1, 0x7c2, v0
	s_clause 0x1
	s_load_b64 s[8:9], s[0:1], 0x50
	s_load_b64 s[10:11], s[0:1], 0x18
	v_mov_b32_e32 v5, 0
	v_lshrrev_b32_e32 v1, 16, v1
	s_delay_alu instid0(VALU_DEP_1) | instskip(SKIP_3) | instid1(VALU_DEP_1)
	v_mad_co_u64_u32 v[1:2], null, ttmp9, 7, v[1:2]
	v_mov_b32_e32 v3, 0
	v_mov_b32_e32 v4, 0
	;; [unrolled: 1-line block ×4, first 2 shown]
	s_wait_kmcnt 0x0
	v_cmp_lt_u64_e64 s2, s[6:7], 2
	v_mov_b32_e32 v9, v1
	s_delay_alu instid0(VALU_DEP_2)
	s_and_b32 vcc_lo, exec_lo, s2
	s_cbranch_vccnz .LBB0_8
; %bb.1:
	s_load_b64 s[2:3], s[0:1], 0x10
	v_dual_mov_b32 v3, 0 :: v_dual_mov_b32 v8, v2
	v_dual_mov_b32 v4, 0 :: v_dual_mov_b32 v7, v1
	s_add_nc_u64 s[12:13], s[10:11], 8
	s_mov_b64 s[14:15], 1
	s_wait_kmcnt 0x0
	s_add_nc_u64 s[16:17], s[2:3], 8
	s_mov_b32 s3, 0
.LBB0_2:                                ; =>This Inner Loop Header: Depth=1
	s_load_b64 s[18:19], s[16:17], 0x0
                                        ; implicit-def: $vgpr9_vgpr10
	s_mov_b32 s2, exec_lo
	s_wait_kmcnt 0x0
	v_or_b32_e32 v6, s19, v8
	s_delay_alu instid0(VALU_DEP_1)
	v_cmpx_ne_u64_e32 0, v[5:6]
	s_wait_alu 0xfffe
	s_xor_b32 s20, exec_lo, s2
	s_cbranch_execz .LBB0_4
; %bb.3:                                ;   in Loop: Header=BB0_2 Depth=1
	s_cvt_f32_u32 s2, s18
	s_cvt_f32_u32 s21, s19
	s_sub_nc_u64 s[24:25], 0, s[18:19]
	s_wait_alu 0xfffe
	s_delay_alu instid0(SALU_CYCLE_1) | instskip(SKIP_1) | instid1(SALU_CYCLE_2)
	s_fmamk_f32 s2, s21, 0x4f800000, s2
	s_wait_alu 0xfffe
	v_s_rcp_f32 s2, s2
	s_delay_alu instid0(TRANS32_DEP_1) | instskip(SKIP_1) | instid1(SALU_CYCLE_2)
	s_mul_f32 s2, s2, 0x5f7ffffc
	s_wait_alu 0xfffe
	s_mul_f32 s21, s2, 0x2f800000
	s_wait_alu 0xfffe
	s_delay_alu instid0(SALU_CYCLE_2) | instskip(SKIP_1) | instid1(SALU_CYCLE_2)
	s_trunc_f32 s21, s21
	s_wait_alu 0xfffe
	s_fmamk_f32 s2, s21, 0xcf800000, s2
	s_cvt_u32_f32 s23, s21
	s_wait_alu 0xfffe
	s_delay_alu instid0(SALU_CYCLE_1) | instskip(SKIP_1) | instid1(SALU_CYCLE_2)
	s_cvt_u32_f32 s22, s2
	s_wait_alu 0xfffe
	s_mul_u64 s[26:27], s[24:25], s[22:23]
	s_wait_alu 0xfffe
	s_mul_hi_u32 s29, s22, s27
	s_mul_i32 s28, s22, s27
	s_mul_hi_u32 s2, s22, s26
	s_mul_i32 s30, s23, s26
	s_wait_alu 0xfffe
	s_add_nc_u64 s[28:29], s[2:3], s[28:29]
	s_mul_hi_u32 s21, s23, s26
	s_mul_hi_u32 s31, s23, s27
	s_add_co_u32 s2, s28, s30
	s_wait_alu 0xfffe
	s_add_co_ci_u32 s2, s29, s21
	s_mul_i32 s26, s23, s27
	s_add_co_ci_u32 s27, s31, 0
	s_wait_alu 0xfffe
	s_add_nc_u64 s[26:27], s[2:3], s[26:27]
	s_wait_alu 0xfffe
	v_add_co_u32 v2, s2, s22, s26
	s_delay_alu instid0(VALU_DEP_1) | instskip(SKIP_1) | instid1(VALU_DEP_1)
	s_cmp_lg_u32 s2, 0
	s_add_co_ci_u32 s23, s23, s27
	v_readfirstlane_b32 s22, v2
	s_wait_alu 0xfffe
	s_delay_alu instid0(VALU_DEP_1)
	s_mul_u64 s[24:25], s[24:25], s[22:23]
	s_wait_alu 0xfffe
	s_mul_hi_u32 s27, s22, s25
	s_mul_i32 s26, s22, s25
	s_mul_hi_u32 s2, s22, s24
	s_mul_i32 s28, s23, s24
	s_wait_alu 0xfffe
	s_add_nc_u64 s[26:27], s[2:3], s[26:27]
	s_mul_hi_u32 s21, s23, s24
	s_mul_hi_u32 s22, s23, s25
	s_wait_alu 0xfffe
	s_add_co_u32 s2, s26, s28
	s_add_co_ci_u32 s2, s27, s21
	s_mul_i32 s24, s23, s25
	s_add_co_ci_u32 s25, s22, 0
	s_wait_alu 0xfffe
	s_add_nc_u64 s[24:25], s[2:3], s[24:25]
	s_wait_alu 0xfffe
	v_add_co_u32 v2, s2, v2, s24
	s_delay_alu instid0(VALU_DEP_1) | instskip(SKIP_1) | instid1(VALU_DEP_1)
	s_cmp_lg_u32 s2, 0
	s_add_co_ci_u32 s2, s23, s25
	v_mul_hi_u32 v6, v7, v2
	s_wait_alu 0xfffe
	v_mad_co_u64_u32 v[9:10], null, v7, s2, 0
	v_mad_co_u64_u32 v[11:12], null, v8, v2, 0
	;; [unrolled: 1-line block ×3, first 2 shown]
	s_delay_alu instid0(VALU_DEP_3) | instskip(SKIP_1) | instid1(VALU_DEP_4)
	v_add_co_u32 v2, vcc_lo, v6, v9
	s_wait_alu 0xfffd
	v_add_co_ci_u32_e32 v6, vcc_lo, 0, v10, vcc_lo
	s_delay_alu instid0(VALU_DEP_2) | instskip(SKIP_1) | instid1(VALU_DEP_2)
	v_add_co_u32 v2, vcc_lo, v2, v11
	s_wait_alu 0xfffd
	v_add_co_ci_u32_e32 v2, vcc_lo, v6, v12, vcc_lo
	s_wait_alu 0xfffd
	v_add_co_ci_u32_e32 v6, vcc_lo, 0, v14, vcc_lo
	s_delay_alu instid0(VALU_DEP_2) | instskip(SKIP_1) | instid1(VALU_DEP_2)
	v_add_co_u32 v2, vcc_lo, v2, v13
	s_wait_alu 0xfffd
	v_add_co_ci_u32_e32 v6, vcc_lo, 0, v6, vcc_lo
	s_delay_alu instid0(VALU_DEP_2) | instskip(SKIP_1) | instid1(VALU_DEP_3)
	v_mul_lo_u32 v11, s19, v2
	v_mad_co_u64_u32 v[9:10], null, s18, v2, 0
	v_mul_lo_u32 v12, s18, v6
	s_delay_alu instid0(VALU_DEP_2) | instskip(NEXT) | instid1(VALU_DEP_2)
	v_sub_co_u32 v9, vcc_lo, v7, v9
	v_add3_u32 v10, v10, v12, v11
	s_delay_alu instid0(VALU_DEP_1) | instskip(SKIP_1) | instid1(VALU_DEP_1)
	v_sub_nc_u32_e32 v11, v8, v10
	s_wait_alu 0xfffd
	v_subrev_co_ci_u32_e64 v11, s2, s19, v11, vcc_lo
	v_add_co_u32 v12, s2, v2, 2
	s_wait_alu 0xf1ff
	v_add_co_ci_u32_e64 v13, s2, 0, v6, s2
	v_sub_co_u32 v14, s2, v9, s18
	v_sub_co_ci_u32_e32 v10, vcc_lo, v8, v10, vcc_lo
	s_wait_alu 0xf1ff
	v_subrev_co_ci_u32_e64 v11, s2, 0, v11, s2
	s_delay_alu instid0(VALU_DEP_3) | instskip(NEXT) | instid1(VALU_DEP_3)
	v_cmp_le_u32_e32 vcc_lo, s18, v14
	v_cmp_eq_u32_e64 s2, s19, v10
	s_wait_alu 0xfffd
	v_cndmask_b32_e64 v14, 0, -1, vcc_lo
	v_cmp_le_u32_e32 vcc_lo, s19, v11
	s_wait_alu 0xfffd
	v_cndmask_b32_e64 v15, 0, -1, vcc_lo
	v_cmp_le_u32_e32 vcc_lo, s18, v9
	;; [unrolled: 3-line block ×3, first 2 shown]
	s_wait_alu 0xfffd
	v_cndmask_b32_e64 v16, 0, -1, vcc_lo
	v_cmp_eq_u32_e32 vcc_lo, s19, v11
	s_wait_alu 0xf1ff
	s_delay_alu instid0(VALU_DEP_2)
	v_cndmask_b32_e64 v9, v16, v9, s2
	s_wait_alu 0xfffd
	v_cndmask_b32_e32 v11, v15, v14, vcc_lo
	v_add_co_u32 v14, vcc_lo, v2, 1
	s_wait_alu 0xfffd
	v_add_co_ci_u32_e32 v15, vcc_lo, 0, v6, vcc_lo
	s_delay_alu instid0(VALU_DEP_3) | instskip(SKIP_1) | instid1(VALU_DEP_2)
	v_cmp_ne_u32_e32 vcc_lo, 0, v11
	s_wait_alu 0xfffd
	v_dual_cndmask_b32 v10, v15, v13 :: v_dual_cndmask_b32 v11, v14, v12
	v_cmp_ne_u32_e32 vcc_lo, 0, v9
	s_wait_alu 0xfffd
	s_delay_alu instid0(VALU_DEP_2) | instskip(NEXT) | instid1(VALU_DEP_3)
	v_cndmask_b32_e32 v10, v6, v10, vcc_lo
	v_cndmask_b32_e32 v9, v2, v11, vcc_lo
.LBB0_4:                                ;   in Loop: Header=BB0_2 Depth=1
	s_wait_alu 0xfffe
	s_and_not1_saveexec_b32 s2, s20
	s_cbranch_execz .LBB0_6
; %bb.5:                                ;   in Loop: Header=BB0_2 Depth=1
	v_cvt_f32_u32_e32 v2, s18
	s_sub_co_i32 s20, 0, s18
	s_delay_alu instid0(VALU_DEP_1) | instskip(NEXT) | instid1(TRANS32_DEP_1)
	v_rcp_iflag_f32_e32 v2, v2
	v_mul_f32_e32 v2, 0x4f7ffffe, v2
	s_delay_alu instid0(VALU_DEP_1) | instskip(SKIP_1) | instid1(VALU_DEP_1)
	v_cvt_u32_f32_e32 v2, v2
	s_wait_alu 0xfffe
	v_mul_lo_u32 v6, s20, v2
	s_delay_alu instid0(VALU_DEP_1) | instskip(NEXT) | instid1(VALU_DEP_1)
	v_mul_hi_u32 v6, v2, v6
	v_add_nc_u32_e32 v2, v2, v6
	s_delay_alu instid0(VALU_DEP_1) | instskip(NEXT) | instid1(VALU_DEP_1)
	v_mul_hi_u32 v2, v7, v2
	v_mul_lo_u32 v6, v2, s18
	v_add_nc_u32_e32 v9, 1, v2
	s_delay_alu instid0(VALU_DEP_2) | instskip(NEXT) | instid1(VALU_DEP_1)
	v_sub_nc_u32_e32 v6, v7, v6
	v_subrev_nc_u32_e32 v10, s18, v6
	v_cmp_le_u32_e32 vcc_lo, s18, v6
	s_wait_alu 0xfffd
	s_delay_alu instid0(VALU_DEP_2) | instskip(SKIP_2) | instid1(VALU_DEP_3)
	v_cndmask_b32_e32 v6, v6, v10, vcc_lo
	v_mov_b32_e32 v10, v5
	v_cndmask_b32_e32 v2, v2, v9, vcc_lo
	v_cmp_le_u32_e32 vcc_lo, s18, v6
	s_delay_alu instid0(VALU_DEP_2) | instskip(SKIP_1) | instid1(VALU_DEP_1)
	v_add_nc_u32_e32 v9, 1, v2
	s_wait_alu 0xfffd
	v_cndmask_b32_e32 v9, v2, v9, vcc_lo
.LBB0_6:                                ;   in Loop: Header=BB0_2 Depth=1
	s_wait_alu 0xfffe
	s_or_b32 exec_lo, exec_lo, s2
	s_load_b64 s[20:21], s[12:13], 0x0
	v_mul_lo_u32 v2, v10, s18
	v_mul_lo_u32 v6, v9, s19
	v_mad_co_u64_u32 v[11:12], null, v9, s18, 0
	s_add_nc_u64 s[14:15], s[14:15], 1
	s_add_nc_u64 s[12:13], s[12:13], 8
	s_wait_alu 0xfffe
	v_cmp_ge_u64_e64 s2, s[14:15], s[6:7]
	s_add_nc_u64 s[16:17], s[16:17], 8
	s_delay_alu instid0(VALU_DEP_2) | instskip(NEXT) | instid1(VALU_DEP_3)
	v_add3_u32 v2, v12, v6, v2
	v_sub_co_u32 v6, vcc_lo, v7, v11
	s_wait_alu 0xfffd
	s_delay_alu instid0(VALU_DEP_2) | instskip(SKIP_3) | instid1(VALU_DEP_2)
	v_sub_co_ci_u32_e32 v2, vcc_lo, v8, v2, vcc_lo
	s_and_b32 vcc_lo, exec_lo, s2
	s_wait_kmcnt 0x0
	v_mul_lo_u32 v7, s21, v6
	v_mul_lo_u32 v2, s20, v2
	v_mad_co_u64_u32 v[3:4], null, s20, v6, v[3:4]
	s_delay_alu instid0(VALU_DEP_1)
	v_add3_u32 v4, v7, v4, v2
	s_wait_alu 0xfffe
	s_cbranch_vccnz .LBB0_8
; %bb.7:                                ;   in Loop: Header=BB0_2 Depth=1
	v_dual_mov_b32 v7, v9 :: v_dual_mov_b32 v8, v10
	s_branch .LBB0_2
.LBB0_8:
	v_mul_hi_u32 v2, 0x24924925, v1
	s_lshl_b64 s[2:3], s[6:7], 3
	v_mul_hi_u32 v6, 0x7c1f07d, v0
	s_wait_alu 0xfffe
	s_add_nc_u64 s[2:3], s[10:11], s[2:3]
	s_load_b64 s[0:1], s[0:1], 0x20
	s_load_b64 s[2:3], s[2:3], 0x0
	s_delay_alu instid0(VALU_DEP_2) | instskip(NEXT) | instid1(VALU_DEP_2)
	v_sub_nc_u32_e32 v5, v1, v2
	v_mul_u32_u24_e32 v6, 33, v6
	s_delay_alu instid0(VALU_DEP_2) | instskip(NEXT) | instid1(VALU_DEP_2)
	v_lshrrev_b32_e32 v5, 1, v5
	v_sub_nc_u32_e32 v20, v0, v6
	s_delay_alu instid0(VALU_DEP_2) | instskip(NEXT) | instid1(VALU_DEP_2)
	v_add_nc_u32_e32 v2, v5, v2
	v_add_nc_u32_e32 v25, 33, v20
	;; [unrolled: 1-line block ×3, first 2 shown]
	s_delay_alu instid0(VALU_DEP_3)
	v_lshrrev_b32_e32 v0, 2, v2
	s_wait_kmcnt 0x0
	v_cmp_gt_u64_e32 vcc_lo, s[0:1], v[9:10]
	v_mul_lo_u32 v5, s2, v10
	v_mul_lo_u32 v6, s3, v9
	v_mad_co_u64_u32 v[2:3], null, s2, v9, v[3:4]
	v_mul_lo_u32 v0, v0, 7
	v_cmp_le_u64_e64 s0, s[0:1], v[9:10]
	s_delay_alu instid0(VALU_DEP_3) | instskip(NEXT) | instid1(VALU_DEP_3)
	v_add3_u32 v3, v6, v3, v5
	v_sub_nc_u32_e32 v0, v1, v0
	s_delay_alu instid0(VALU_DEP_3)
	s_and_saveexec_b32 s1, s0
	s_wait_alu 0xfffe
	s_xor_b32 s0, exec_lo, s1
; %bb.9:
	v_add_nc_u32_e32 v25, 33, v20
	v_add_nc_u32_e32 v24, 0x42, v20
; %bb.10:
	s_wait_alu 0xfffe
	s_or_saveexec_b32 s1, s0
	v_mul_u32_u24_e32 v0, 0x109, v0
	v_lshlrev_b64_e32 v[22:23], 3, v[2:3]
	v_lshlrev_b32_e32 v33, 3, v20
	s_delay_alu instid0(VALU_DEP_3)
	v_lshlrev_b32_e32 v16, 3, v0
	s_wait_alu 0xfffe
	s_xor_b32 exec_lo, exec_lo, s1
	s_cbranch_execz .LBB0_12
; %bb.11:
	v_mov_b32_e32 v21, 0
	v_add_co_u32 v2, s0, s8, v22
	s_wait_alu 0xf1ff
	v_add_co_ci_u32_e64 v3, s0, s9, v23, s0
	s_delay_alu instid0(VALU_DEP_3) | instskip(SKIP_1) | instid1(VALU_DEP_2)
	v_lshlrev_b64_e32 v[0:1], 3, v[20:21]
	v_add3_u32 v17, 0, v16, v33
	v_add_co_u32 v0, s0, v2, v0
	s_wait_alu 0xf1ff
	s_delay_alu instid0(VALU_DEP_3)
	v_add_co_ci_u32_e64 v1, s0, v3, v1, s0
	s_clause 0x7
	global_load_b64 v[2:3], v[0:1], off
	global_load_b64 v[4:5], v[0:1], off offset:264
	global_load_b64 v[6:7], v[0:1], off offset:528
	global_load_b64 v[8:9], v[0:1], off offset:792
	global_load_b64 v[10:11], v[0:1], off offset:1056
	global_load_b64 v[12:13], v[0:1], off offset:1320
	global_load_b64 v[14:15], v[0:1], off offset:1584
	global_load_b64 v[0:1], v[0:1], off offset:1848
	s_wait_loadcnt 0x6
	ds_store_2addr_b64 v17, v[2:3], v[4:5] offset1:33
	s_wait_loadcnt 0x4
	ds_store_2addr_b64 v17, v[6:7], v[8:9] offset0:66 offset1:99
	s_wait_loadcnt 0x2
	ds_store_2addr_b64 v17, v[10:11], v[12:13] offset0:132 offset1:165
	;; [unrolled: 2-line block ×3, first 2 shown]
.LBB0_12:
	s_or_b32 exec_lo, exec_lo, s1
	v_add_nc_u32_e32 v31, 0, v16
	v_add3_u32 v21, 0, v33, v16
	global_wb scope:SCOPE_SE
	s_wait_dscnt 0x0
	s_barrier_signal -1
	s_barrier_wait -1
	v_add_nc_u32_e32 v30, v31, v33
	global_inv scope:SCOPE_SE
	ds_load_2addr_b64 v[0:3], v21 offset0:33 offset1:66
	ds_load_2addr_b64 v[4:7], v21 offset0:165 offset1:198
	;; [unrolled: 1-line block ×3, first 2 shown]
	ds_load_b64 v[12:13], v30
	ds_load_b64 v[14:15], v21 offset:1848
	global_wb scope:SCOPE_SE
	s_wait_dscnt 0x0
	s_barrier_signal -1
	s_barrier_wait -1
	global_inv scope:SCOPE_SE
	v_cmp_gt_u32_e64 s0, 22, v20
	v_dual_sub_f32 v6, v2, v6 :: v_dual_sub_f32 v7, v3, v7
	v_dual_sub_f32 v4, v0, v4 :: v_dual_sub_f32 v5, v1, v5
	;; [unrolled: 1-line block ×4, first 2 shown]
	s_delay_alu instid0(VALU_DEP_4)
	v_fma_f32 v2, v2, 2.0, -v6
	v_fma_f32 v3, v3, 2.0, -v7
	;; [unrolled: 1-line block ×8, first 2 shown]
	v_dual_sub_f32 v18, v10, v7 :: v_dual_add_f32 v19, v11, v6
	v_dual_sub_f32 v7, v4, v15 :: v_dual_add_f32 v14, v5, v14
	s_delay_alu instid0(VALU_DEP_4) | instskip(SKIP_1) | instid1(VALU_DEP_4)
	v_dual_sub_f32 v15, v17, v2 :: v_dual_sub_f32 v8, v0, v8
	v_sub_f32_e32 v26, v13, v3
	v_fma_f32 v6, v10, 2.0, -v18
	v_fma_f32 v10, v11, 2.0, -v19
	v_dual_sub_f32 v9, v1, v9 :: v_dual_fmamk_f32 v12, v7, 0x3f3504f3, v18
	v_fma_f32 v4, v4, 2.0, -v7
	v_fma_f32 v5, v5, 2.0, -v14
	v_fma_f32 v11, v17, 2.0, -v15
	v_fma_f32 v17, v13, 2.0, -v26
	v_fma_f32 v2, v0, 2.0, -v8
	v_fma_f32 v3, v1, 2.0, -v9
	v_fmamk_f32 v0, v4, 0xbf3504f3, v6
	v_fmamk_f32 v1, v5, 0xbf3504f3, v10
	s_delay_alu instid0(VALU_DEP_4) | instskip(NEXT) | instid1(VALU_DEP_3)
	v_dual_fmamk_f32 v13, v14, 0x3f3504f3, v19 :: v_dual_sub_f32 v2, v11, v2
	v_dual_sub_f32 v3, v17, v3 :: v_dual_fmac_f32 v0, 0xbf3504f3, v5
	v_dual_add_f32 v29, v26, v8 :: v_dual_sub_f32 v28, v15, v9
	s_delay_alu instid0(VALU_DEP_4)
	v_fmac_f32_e32 v1, 0x3f3504f3, v4
	v_fmac_f32_e32 v12, 0xbf3504f3, v14
	;; [unrolled: 1-line block ×3, first 2 shown]
	v_fma_f32 v4, v11, 2.0, -v2
	v_fma_f32 v5, v17, 2.0, -v3
	;; [unrolled: 1-line block ×4, first 2 shown]
	v_mad_u32_u24 v14, v20, 56, v21
	v_fma_f32 v8, v15, 2.0, -v28
	v_fma_f32 v9, v26, 2.0, -v29
	;; [unrolled: 1-line block ×4, first 2 shown]
	v_lshl_add_u32 v32, v25, 3, v31
	ds_store_2addr_b64 v14, v[4:5], v[6:7] offset1:1
	ds_store_2addr_b64 v14, v[8:9], v[10:11] offset0:2 offset1:3
	ds_store_2addr_b64 v14, v[2:3], v[0:1] offset0:4 offset1:5
	;; [unrolled: 1-line block ×3, first 2 shown]
	global_wb scope:SCOPE_SE
	s_wait_dscnt 0x0
	s_barrier_signal -1
	s_barrier_wait -1
	global_inv scope:SCOPE_SE
	ds_load_b64 v[6:7], v30
	ds_load_b64 v[0:1], v32
	s_wait_dscnt 0x1
	ds_load_b32 v7, v30 offset:4
	ds_load_2addr_b64 v[8:11], v21 offset0:88 offset1:121
	ds_load_2addr_b64 v[2:5], v21 offset0:176 offset1:209
                                        ; implicit-def: $vgpr15
	s_and_saveexec_b32 s1, s0
	s_cbranch_execz .LBB0_14
; %bb.13:
	v_lshlrev_b32_e32 v17, 3, v24
	ds_load_2addr_b64 v[12:15], v21 offset0:154 offset1:242
	v_add3_u32 v17, 0, v17, v16
	ds_load_b64 v[28:29], v17
.LBB0_14:
	s_wait_alu 0xfffe
	s_or_b32 exec_lo, exec_lo, s1
	v_and_b32_e32 v18, 7, v20
	v_and_b32_e32 v19, 7, v25
	s_delay_alu instid0(VALU_DEP_2) | instskip(NEXT) | instid1(VALU_DEP_2)
	v_lshlrev_b32_e32 v26, 4, v18
	v_lshlrev_b32_e32 v27, 4, v19
	global_load_b128 v[34:37], v26, s[4:5]
	v_and_b32_e32 v17, 7, v24
	s_delay_alu instid0(VALU_DEP_1)
	v_lshlrev_b32_e32 v26, 4, v17
	s_clause 0x1
	global_load_b128 v[38:41], v27, s[4:5]
	global_load_b128 v[42:45], v26, s[4:5]
	v_lshrrev_b32_e32 v26, 3, v25
	v_lshrrev_b32_e32 v27, 3, v20
	global_wb scope:SCOPE_SE
	s_wait_loadcnt_dscnt 0x0
	s_barrier_signal -1
	s_barrier_wait -1
	v_mul_lo_u32 v26, v26, 24
	v_mul_u32_u24_e32 v27, 24, v27
	global_inv scope:SCOPE_SE
	v_or_b32_e32 v18, v27, v18
	s_delay_alu instid0(VALU_DEP_1) | instskip(NEXT) | instid1(VALU_DEP_1)
	v_dual_mul_f32 v27, v35, v8 :: v_dual_lshlrev_b32 v18, 3, v18
	v_dual_fmac_f32 v27, v34, v9 :: v_dual_mul_f32 v46, v39, v11
	v_or_b32_e32 v19, v26, v19
	v_dual_mul_f32 v26, v35, v9 :: v_dual_mul_f32 v35, v37, v3
	v_mul_f32_e32 v37, v37, v2
	v_dual_mul_f32 v39, v39, v10 :: v_dual_mul_f32 v48, v13, v43
	v_mul_f32_e32 v47, v41, v5
	s_delay_alu instid0(VALU_DEP_4)
	v_fma_f32 v8, v34, v8, -v26
	v_fma_f32 v2, v36, v2, -v35
	v_fmac_f32_e32 v37, v36, v3
	v_mul_f32_e32 v41, v41, v4
	v_fma_f32 v3, v38, v10, -v46
	v_mul_f32_e32 v49, v15, v45
	v_fmac_f32_e32 v39, v38, v11
	v_mul_f32_e32 v45, v14, v45
	v_add_f32_e32 v9, v8, v6
	v_add_f32_e32 v11, v8, v2
	v_fma_f32 v4, v40, v4, -v47
	s_delay_alu instid0(VALU_DEP_4)
	v_dual_add_f32 v36, v1, v39 :: v_dual_fmac_f32 v45, v15, v44
	v_sub_f32_e32 v15, v8, v2
	v_add_f32_e32 v8, v0, v3
	v_fma_f32 v10, v14, v44, -v49
	v_add_f32_e32 v14, v27, v37
	v_fmac_f32_e32 v41, v40, v5
	v_fma_f32 v5, v12, v42, -v48
	v_add_f32_e32 v34, v3, v4
	v_fmac_f32_e32 v6, -0.5, v11
	v_add_f32_e32 v8, v8, v4
	v_add3_u32 v18, 0, v18, v16
	v_dual_sub_f32 v46, v5, v10 :: v_dual_mul_f32 v43, v12, v43
	v_add_f32_e32 v38, v39, v41
	v_add_f32_e32 v40, v5, v10
	v_fma_f32 v0, -0.5, v34, v0
	s_delay_alu instid0(VALU_DEP_4) | instskip(SKIP_2) | instid1(VALU_DEP_3)
	v_fmac_f32_e32 v43, v13, v42
	v_add_f32_e32 v13, v7, v27
	v_fmac_f32_e32 v7, -0.5, v14
	v_dual_fmac_f32 v1, -0.5, v38 :: v_dual_add_f32 v44, v29, v43
	v_sub_f32_e32 v35, v39, v41
	v_sub_f32_e32 v39, v3, v4
	v_dual_add_f32 v3, v28, v5 :: v_dual_fmac_f32 v28, -0.5, v40
	v_add_f32_e32 v26, v9, v2
	v_dual_sub_f32 v42, v43, v45 :: v_dual_lshlrev_b32 v19, 3, v19
	v_sub_f32_e32 v12, v27, v37
	v_add_f32_e32 v43, v43, v45
	v_add_f32_e32 v9, v36, v41
	s_delay_alu instid0(VALU_DEP_4) | instskip(NEXT) | instid1(VALU_DEP_4)
	v_add3_u32 v19, 0, v19, v16
	v_fmamk_f32 v4, v12, 0x3f5db3d7, v6
	v_fmac_f32_e32 v6, 0xbf5db3d7, v12
	v_fmamk_f32 v12, v42, 0x3f5db3d7, v28
	v_dual_fmac_f32 v28, 0xbf5db3d7, v42 :: v_dual_fmac_f32 v29, -0.5, v43
	v_dual_add_f32 v27, v13, v37 :: v_dual_add_f32 v2, v3, v10
	v_dual_add_f32 v3, v44, v45 :: v_dual_fmamk_f32 v10, v35, 0x3f5db3d7, v0
	v_fmamk_f32 v5, v15, 0xbf5db3d7, v7
	v_fmac_f32_e32 v7, 0x3f5db3d7, v15
	v_dual_fmac_f32 v0, 0xbf5db3d7, v35 :: v_dual_fmamk_f32 v11, v39, 0xbf5db3d7, v1
	v_fmac_f32_e32 v1, 0x3f5db3d7, v39
	v_fmamk_f32 v13, v46, 0xbf5db3d7, v29
	v_fmac_f32_e32 v29, 0x3f5db3d7, v46
	ds_store_2addr_b64 v18, v[26:27], v[4:5] offset1:8
	ds_store_b64 v18, v[6:7] offset:128
	ds_store_2addr_b64 v19, v[8:9], v[10:11] offset1:8
	ds_store_b64 v19, v[0:1] offset:128
	s_and_saveexec_b32 s1, s0
	s_cbranch_execz .LBB0_16
; %bb.15:
	v_lshrrev_b32_e32 v14, 3, v24
	s_delay_alu instid0(VALU_DEP_1) | instskip(NEXT) | instid1(VALU_DEP_1)
	v_mul_lo_u32 v14, v14, 24
	v_or_b32_e32 v14, v14, v17
	s_delay_alu instid0(VALU_DEP_1) | instskip(NEXT) | instid1(VALU_DEP_1)
	v_lshlrev_b32_e32 v14, 3, v14
	v_add3_u32 v14, 0, v14, v16
	ds_store_2addr_b64 v14, v[2:3], v[12:13] offset1:8
	ds_store_b64 v14, v[28:29] offset:128
.LBB0_16:
	s_wait_alu 0xfffe
	s_or_b32 exec_lo, exec_lo, s1
	v_cmp_gt_u32_e64 s0, 24, v20
	global_wb scope:SCOPE_SE
	s_wait_dscnt 0x0
	s_barrier_signal -1
	s_barrier_wait -1
	global_inv scope:SCOPE_SE
                                        ; implicit-def: $vgpr19
	s_and_saveexec_b32 s1, s0
	s_cbranch_execz .LBB0_18
; %bb.17:
	ds_load_2addr_b64 v[12:15], v21 offset0:168 offset1:192
	ds_load_b64 v[26:27], v30
	ds_load_2addr_b64 v[4:7], v21 offset0:24 offset1:48
	ds_load_2addr_b64 v[8:11], v21 offset0:72 offset1:96
	;; [unrolled: 1-line block ×4, first 2 shown]
	s_wait_dscnt 0x5
	v_dual_mov_b32 v29, v15 :: v_dual_mov_b32 v28, v14
.LBB0_18:
	s_wait_alu 0xfffe
	s_or_b32 exec_lo, exec_lo, s1
	global_wb scope:SCOPE_SE
	s_wait_dscnt 0x0
	s_barrier_signal -1
	s_barrier_wait -1
	global_inv scope:SCOPE_SE
	s_and_saveexec_b32 s1, s0
	s_cbranch_execz .LBB0_20
; %bb.19:
	v_subrev_nc_u32_e32 v14, 24, v20
	v_mov_b32_e32 v15, 0
	s_delay_alu instid0(VALU_DEP_2) | instskip(NEXT) | instid1(VALU_DEP_1)
	v_cndmask_b32_e64 v14, v14, v20, s0
	v_mul_i32_i24_e32 v14, 10, v14
	s_delay_alu instid0(VALU_DEP_1) | instskip(NEXT) | instid1(VALU_DEP_1)
	v_lshlrev_b64_e32 v[14:15], 3, v[14:15]
	v_add_co_u32 v14, s0, s4, v14
	s_wait_alu 0xf1ff
	s_delay_alu instid0(VALU_DEP_2)
	v_add_co_ci_u32_e64 v15, s0, s5, v15, s0
	s_clause 0x4
	global_load_b128 v[42:45], v[14:15], off offset:192
	global_load_b128 v[46:49], v[14:15], off offset:128
	;; [unrolled: 1-line block ×5, first 2 shown]
	s_wait_loadcnt 0x4
	v_mul_f32_e32 v14, v18, v45
	s_wait_loadcnt 0x3
	v_dual_mul_f32 v62, v4, v47 :: v_dual_mul_f32 v45, v19, v45
	v_dual_mul_f32 v41, v5, v47 :: v_dual_mul_f32 v40, v6, v49
	s_wait_loadcnt 0x0
	v_dual_mul_f32 v15, v16, v43 :: v_dual_mul_f32 v36, v2, v61
	v_dual_mul_f32 v47, v7, v49 :: v_dual_mul_f32 v38, v0, v59
	;; [unrolled: 1-line block ×3, first 2 shown]
	v_dual_mul_f32 v39, v8, v55 :: v_dual_fmac_f32 v14, v19, v44
	v_dual_mul_f32 v49, v9, v55 :: v_dual_fmac_f32 v40, v7, v48
	;; [unrolled: 1-line block ×3, first 2 shown]
	s_delay_alu instid0(VALU_DEP_4)
	v_dual_mul_f32 v37, v10, v57 :: v_dual_fmac_f32 v34, v29, v52
	v_dual_mul_f32 v55, v11, v57 :: v_dual_fmac_f32 v38, v1, v58
	;; [unrolled: 1-line block ×3, first 2 shown]
	v_mul_f32_e32 v51, v13, v51
	v_fma_f32 v46, v4, v46, -v41
	v_fma_f32 v4, v18, v44, -v45
	v_mul_f32_e32 v57, v1, v59
	v_fma_f32 v41, v6, v48, -v47
	v_fma_f32 v5, v16, v42, -v43
	v_fmac_f32_e32 v39, v9, v54
	v_fma_f32 v9, v8, v54, -v49
	v_fmac_f32_e32 v35, v13, v50
	s_delay_alu instid0(VALU_DEP_4)
	v_dual_fmac_f32 v37, v11, v56 :: v_dual_sub_f32 v18, v41, v5
	v_fma_f32 v8, v10, v56, -v55
	v_fmac_f32_e32 v15, v17, v42
	v_mul_f32_e32 v59, v3, v61
	v_dual_add_f32 v13, v62, v14 :: v_dual_add_f32 v10, v41, v5
	v_fma_f32 v6, v28, v52, -v53
	v_dual_sub_f32 v17, v46, v4 :: v_dual_add_f32 v44, v27, v62
	v_add_f32_e32 v16, v46, v4
	v_fma_f32 v1, v0, v58, -v57
	v_fma_f32 v0, v2, v60, -v59
	v_add_f32_e32 v2, v38, v36
	v_fma_f32 v7, v12, v50, -v51
	v_sub_f32_e32 v42, v62, v14
	v_sub_f32_e32 v50, v38, v36
	v_dual_mul_f32 v52, 0xbf75a155, v13 :: v_dual_add_f32 v11, v39, v34
	v_sub_f32_e32 v48, v37, v35
	v_add_f32_e32 v3, v37, v35
	v_dual_sub_f32 v19, v9, v6 :: v_dual_sub_f32 v28, v8, v7
	s_delay_alu instid0(VALU_DEP_4) | instskip(SKIP_4) | instid1(VALU_DEP_4)
	v_dual_mul_f32 v54, 0xbf27a4f4, v11 :: v_dual_sub_f32 v29, v1, v0
	v_dual_sub_f32 v43, v40, v15 :: v_dual_mul_f32 v56, 0xbe11bafb, v2
	v_dual_mul_f32 v59, 0xbf4178ce, v17 :: v_dual_mul_f32 v74, 0xbf4178ce, v18
	v_dual_mul_f32 v66, 0xbf7d64f0, v17 :: v_dual_mul_f32 v71, 0xbf7d64f0, v42
	v_dual_add_f32 v12, v40, v15 :: v_dual_add_f32 v45, v26, v46
	v_mul_f32_e32 v58, 0x3f0a6770, v43
	v_dual_sub_f32 v46, v39, v34 :: v_dual_add_f32 v51, v1, v0
	v_mul_f32_e32 v64, 0xbf4178ce, v42
	v_dual_mul_f32 v61, 0xbf0a6770, v19 :: v_dual_mul_f32 v80, 0xbf0a6770, v17
	v_dual_mul_f32 v63, 0x3f68dda4, v29 :: v_dual_mul_f32 v68, 0x3f68dda4, v19
	;; [unrolled: 1-line block ×5, first 2 shown]
	v_dual_mul_f32 v82, 0xbf7d64f0, v19 :: v_dual_add_f32 v41, v45, v41
	v_fma_f32 v109, 0xbe11bafb, v16, -v71
	v_fmamk_f32 v97, v19, 0x3f4178ce, v54
	v_fmac_f32_e32 v54, 0xbf4178ce, v19
	v_dual_fmamk_f32 v19, v13, 0xbf27a4f4, v59 :: v_dual_fmamk_f32 v108, v2, 0xbf27a4f4, v70
	v_dual_add_f32 v47, v9, v6 :: v_dual_mul_f32 v62, 0xbe903f40, v28
	v_dual_add_f32 v49, v8, v7 :: v_dual_mul_f32 v60, 0x3f7d64f0, v18
	v_dual_mul_f32 v55, 0x3ed4b147, v3 :: v_dual_add_f32 v40, v44, v40
	v_dual_mul_f32 v57, 0xbe903f40, v42 :: v_dual_mul_f32 v84, 0xbe903f40, v29
	v_dual_mul_f32 v67, 0x3e903f40, v18 :: v_dual_mul_f32 v72, 0x3e903f40, v43
	v_mul_f32_e32 v69, 0xbf0a6770, v28
	v_dual_mul_f32 v73, 0xbf68dda4, v17 :: v_dual_mul_f32 v78, 0xbf68dda4, v42
	v_dual_mul_f32 v77, 0x3f0a6770, v29 :: v_dual_mul_f32 v94, 0x3f0a6770, v50
	v_mul_f32_e32 v53, 0x3f575c64, v12
	v_dual_mul_f32 v81, 0xbf68dda4, v18 :: v_dual_fmamk_f32 v98, v28, 0xbf68dda4, v55
	v_dual_mul_f32 v83, 0xbf4178ce, v28 :: v_dual_mul_f32 v44, 0xbf4178ce, v46
	v_mul_f32_e32 v42, 0xbf0a6770, v42
	v_dual_mul_f32 v87, 0x3f68dda4, v48 :: v_dual_mul_f32 v92, 0x3f68dda4, v50
	v_dual_mul_f32 v90, 0x3f7d64f0, v48 :: v_dual_fmamk_f32 v99, v29, 0x3f7d64f0, v56
	v_mul_f32_e32 v93, 0xbf4178ce, v50
	v_fma_f32 v102, 0xbf27a4f4, v16, -v64
	v_mul_f32_e32 v89, 0xbf0a6770, v48
	v_fma_f32 v103, 0xbe11bafb, v10, -v65
	v_dual_fmamk_f32 v104, v13, 0xbe11bafb, v66 :: v_dual_fmac_f32 v65, 0xbe11bafb, v10
	v_fmamk_f32 v95, v17, 0x3e903f40, v52
	v_mul_f32_e32 v88, 0xbe903f40, v48
	v_mul_f32_e32 v48, 0xbf4178ce, v48
	v_dual_fmac_f32 v52, 0xbe903f40, v17 :: v_dual_add_f32 v19, v27, v19
	v_mul_f32_e32 v43, 0xbf68dda4, v43
	v_fmac_f32_e32 v64, 0xbf27a4f4, v16
	v_mul_f32_e32 v85, 0x3f68dda4, v46
	v_dual_mul_f32 v91, 0xbf7d64f0, v50 :: v_dual_fmac_f32 v56, 0xbf7d64f0, v29
	v_fmamk_f32 v100, v16, 0xbf75a155, v57
	v_fma_f32 v17, 0xbf75a155, v16, -v57
	v_fmamk_f32 v57, v3, 0xbf75a155, v62
	v_mul_f32_e32 v50, 0xbe903f40, v50
	v_fmamk_f32 v29, v11, 0x3f575c64, v61
	v_fmamk_f32 v105, v12, 0xbf75a155, v67
	v_dual_fmamk_f32 v106, v11, 0x3ed4b147, v68 :: v_dual_fmamk_f32 v111, v13, 0x3ed4b147, v73
	v_fmamk_f32 v107, v3, 0x3f575c64, v69
	v_fma_f32 v110, 0xbf75a155, v10, -v72
	v_fmamk_f32 v112, v12, 0xbf27a4f4, v74
	v_fmamk_f32 v113, v11, 0xbf75a155, v75
	v_fma_f32 v114, 0x3ed4b147, v16, -v78
	v_fma_f32 v59, 0xbf27a4f4, v13, -v59
	;; [unrolled: 1-line block ×3, first 2 shown]
	v_fmac_f32_e32 v55, 0x3f68dda4, v28
	v_dual_fmamk_f32 v28, v12, 0xbe11bafb, v60 :: v_dual_fmac_f32 v71, 0xbe11bafb, v16
	v_fma_f32 v73, 0x3ed4b147, v13, -v73
	v_dual_fmac_f32 v78, 0x3ed4b147, v16 :: v_dual_fmamk_f32 v117, v12, 0x3ed4b147, v81
	v_fmamk_f32 v116, v2, 0x3f575c64, v77
	v_dual_mul_f32 v45, 0xbf0a6770, v46 :: v_dual_fmamk_f32 v96, v18, 0xbf0a6770, v53
	v_dual_mul_f32 v46, 0xbf7d64f0, v46 :: v_dual_add_f32 v9, v41, v9
	v_fma_f32 v60, 0xbe11bafb, v12, -v60
	v_fma_f32 v67, 0xbf75a155, v12, -v67
	;; [unrolled: 1-line block ×4, first 2 shown]
	v_dual_fmamk_f32 v81, v11, 0xbe11bafb, v82 :: v_dual_add_f32 v78, v26, v78
	v_fma_f32 v61, 0x3f575c64, v11, -v61
	v_fma_f32 v68, 0x3ed4b147, v11, -v68
	;; [unrolled: 1-line block ×4, first 2 shown]
	v_dual_fmamk_f32 v82, v3, 0xbf27a4f4, v83 :: v_dual_add_f32 v71, v26, v71
	v_fma_f32 v62, 0xbf75a155, v3, -v62
	v_fma_f32 v69, 0x3f575c64, v3, -v69
	;; [unrolled: 1-line block ×4, first 2 shown]
	v_fmac_f32_e32 v72, 0xbf75a155, v10
	v_fma_f32 v126, 0xbf27a4f4, v51, -v93
	v_fmac_f32_e32 v93, 0xbf27a4f4, v51
	v_dual_fmamk_f32 v115, v13, 0x3f575c64, v80 :: v_dual_add_f32 v64, v26, v64
	v_fmamk_f32 v101, v10, 0x3f575c64, v58
	v_fma_f32 v13, 0x3f575c64, v13, -v80
	v_fma_f32 v80, 0x3f575c64, v16, -v42
	v_fmac_f32_e32 v53, 0x3f0a6770, v18
	v_fma_f32 v18, 0x3f575c64, v10, -v58
	v_fmamk_f32 v58, v2, 0x3ed4b147, v63
	v_fmac_f32_e32 v42, 0x3f575c64, v16
	v_fmamk_f32 v16, v3, 0xbe11bafb, v76
	v_fma_f32 v76, 0xbe11bafb, v3, -v76
	v_fma_f32 v3, 0xbf27a4f4, v3, -v83
	v_dual_fmamk_f32 v83, v2, 0xbf75a155, v84 :: v_dual_add_f32 v8, v9, v8
	v_fma_f32 v63, 0x3ed4b147, v2, -v63
	v_fma_f32 v84, 0xbf75a155, v2, -v84
	;; [unrolled: 1-line block ×3, first 2 shown]
	v_dual_fmac_f32 v79, 0xbf27a4f4, v10 :: v_dual_add_f32 v52, v27, v52
	v_fma_f32 v118, 0x3ed4b147, v10, -v43
	v_dual_fmac_f32 v43, 0x3ed4b147, v10 :: v_dual_add_f32 v10, v40, v39
	v_fmamk_f32 v39, v47, 0xbf27a4f4, v44
	v_fma_f32 v40, 0xbf27a4f4, v47, -v44
	v_fma_f32 v41, 0x3f575c64, v47, -v45
	s_delay_alu instid0(VALU_DEP_4)
	v_dual_fmac_f32 v45, 0x3f575c64, v47 :: v_dual_add_f32 v10, v10, v37
	v_fma_f32 v44, 0x3ed4b147, v47, -v85
	v_fmac_f32_e32 v85, 0x3ed4b147, v47
	v_fma_f32 v119, 0xbf75a155, v47, -v86
	v_fmac_f32_e32 v86, 0xbf75a155, v47
	v_fma_f32 v120, 0xbe11bafb, v47, -v46
	v_fmac_f32_e32 v46, 0xbe11bafb, v47
	v_fmamk_f32 v47, v49, 0x3ed4b147, v87
	v_fma_f32 v87, 0x3ed4b147, v49, -v87
	v_fma_f32 v121, 0xbf75a155, v49, -v88
	v_dual_fmac_f32 v88, 0xbf75a155, v49 :: v_dual_add_f32 v59, v27, v59
	v_fma_f32 v122, 0x3f575c64, v49, -v89
	v_fmac_f32_e32 v89, 0x3f575c64, v49
	v_fma_f32 v123, 0xbe11bafb, v49, -v90
	v_fmac_f32_e32 v90, 0xbe11bafb, v49
	;; [unrolled: 2-line block ×3, first 2 shown]
	v_fmamk_f32 v49, v51, 0xbe11bafb, v91
	v_fma_f32 v91, 0xbe11bafb, v51, -v91
	v_fma_f32 v125, 0x3ed4b147, v51, -v92
	v_fmac_f32_e32 v92, 0x3ed4b147, v51
	v_fma_f32 v127, 0x3f575c64, v51, -v94
	v_fmac_f32_e32 v94, 0x3f575c64, v51
	v_fma_f32 v128, 0xbf75a155, v51, -v50
	v_dual_fmac_f32 v50, 0xbf75a155, v51 :: v_dual_add_f32 v73, v27, v73
	v_add_f32_e32 v51, v27, v95
	v_add_f32_e32 v95, v26, v100
	v_add_f32_e32 v17, v26, v17
	v_add_f32_e32 v100, v26, v102
	v_add_f32_e32 v102, v27, v104
	v_dual_add_f32 v104, v26, v109 :: v_dual_add_f32 v109, v27, v111
	v_dual_add_f32 v111, v26, v114 :: v_dual_add_f32 v114, v27, v115
	v_add_f32_e32 v80, v26, v80
	v_add_f32_e32 v66, v27, v66
	s_delay_alu instid0(VALU_DEP_3)
	v_dual_add_f32 v13, v27, v13 :: v_dual_add_f32 v2, v2, v111
	v_dual_add_f32 v26, v26, v42 :: v_dual_add_f32 v9, v96, v51
	v_add_f32_e32 v27, v101, v95
	v_dual_add_f32 v37, v53, v52 :: v_dual_add_f32 v10, v10, v38
	v_dual_add_f32 v17, v18, v17 :: v_dual_add_f32 v52, v117, v114
	v_dual_add_f32 v18, v28, v19 :: v_dual_add_f32 v19, v103, v100
	v_add_f32_e32 v28, v105, v102
	v_dual_add_f32 v42, v110, v104 :: v_dual_add_f32 v51, v112, v109
	v_add_f32_e32 v38, v65, v64
	v_add_f32_e32 v53, v118, v80
	;; [unrolled: 1-line block ×3, first 2 shown]
	v_dual_add_f32 v8, v60, v59 :: v_dual_add_f32 v59, v67, v66
	v_add_f32_e32 v64, v74, v73
	v_dual_add_f32 v60, v72, v71 :: v_dual_add_f32 v65, v79, v78
	v_dual_add_f32 v12, v12, v13 :: v_dual_add_f32 v13, v43, v26
	v_dual_add_f32 v28, v106, v28 :: v_dual_add_f32 v9, v97, v9
	v_add_f32_e32 v2, v119, v2
	v_dual_add_f32 v26, v39, v27 :: v_dual_add_f32 v27, v54, v37
	v_dual_add_f32 v18, v29, v18 :: v_dual_add_f32 v17, v40, v17
	;; [unrolled: 4-line block ×4, first 2 shown]
	v_dual_add_f32 v11, v11, v12 :: v_dual_add_f32 v18, v57, v18
	v_dual_add_f32 v12, v46, v13 :: v_dual_add_f32 v13, v47, v26
	v_add_f32_e32 v26, v55, v27
	v_add_f32_e32 v17, v87, v17
	v_dual_add_f32 v19, v121, v19 :: v_dual_add_f32 v16, v16, v37
	v_dual_add_f32 v27, v107, v28 :: v_dual_add_f32 v38, v89, v38
	;; [unrolled: 1-line block ×4, first 2 shown]
	v_add_f32_e32 v36, v69, v36
	v_add_f32_e32 v39, v124, v40
	v_dual_add_f32 v35, v10, v35 :: v_dual_add_f32 v46, v48, v12
	v_dual_add_f32 v40, v0, v7 :: v_dual_add_f32 v43, v62, v1
	v_add_f32_e32 v10, v108, v27
	v_dual_add_f32 v41, v76, v41 :: v_dual_add_f32 v42, v90, v42
	v_dual_add_f32 v45, v3, v11 :: v_dual_add_f32 v0, v49, v13
	;; [unrolled: 1-line block ×3, first 2 shown]
	v_add_f32_e32 v9, v126, v28
	v_dual_add_f32 v11, v127, v29 :: v_dual_add_f32 v28, v40, v6
	v_dual_add_f32 v13, v35, v34 :: v_dual_add_f32 v6, v77, v41
	;; [unrolled: 1-line block ×4, first 2 shown]
	s_delay_alu instid0(VALU_DEP_3)
	v_add_f32_e32 v13, v13, v15
	v_dual_add_f32 v15, v28, v5 :: v_dual_add_f32 v28, v50, v46
	v_dual_add_f32 v17, v83, v37 :: v_dual_add_f32 v18, v92, v44
	v_add_f32_e32 v16, v128, v39
	v_dual_add_f32 v19, v63, v43 :: v_dual_add_f32 v26, v93, v38
	v_dual_add_f32 v27, v70, v36 :: v_dual_add_f32 v14, v13, v14
	v_add_f32_e32 v13, v15, v4
	v_add_f32_e32 v5, v94, v42
	;; [unrolled: 1-line block ×3, first 2 shown]
	ds_store_2addr_b64 v21, v[16:17], v[11:12] offset0:24 offset1:48
	ds_store_2addr_b64 v21, v[9:10], v[7:8] offset0:72 offset1:96
	;; [unrolled: 1-line block ×4, first 2 shown]
	ds_store_b64 v30, v[13:14]
	ds_store_2addr_b64 v21, v[5:6], v[28:29] offset0:216 offset1:240
.LBB0_20:
	s_wait_alu 0xfffe
	s_or_b32 exec_lo, exec_lo, s1
	global_wb scope:SCOPE_SE
	s_wait_dscnt 0x0
	s_barrier_signal -1
	s_barrier_wait -1
	global_inv scope:SCOPE_SE
	ds_load_b64 v[2:3], v30
	v_sub_nc_u32_e32 v4, v31, v33
	s_mov_b32 s1, exec_lo
                                        ; implicit-def: $vgpr6
                                        ; implicit-def: $vgpr5
                                        ; implicit-def: $vgpr0_vgpr1
	v_cmpx_ne_u32_e32 0, v20
	s_wait_alu 0xfffe
	s_xor_b32 s1, exec_lo, s1
	s_cbranch_execz .LBB0_22
; %bb.21:
	ds_load_b64 v[5:6], v4 offset:2112
	s_wait_dscnt 0x0
	v_dual_mov_b32 v21, 0 :: v_dual_add_f32 v8, v6, v3
	s_delay_alu instid0(VALU_DEP_1) | instskip(SKIP_1) | instid1(VALU_DEP_1)
	v_lshlrev_b64_e32 v[0:1], 3, v[20:21]
	v_dual_sub_f32 v7, v2, v5 :: v_dual_add_f32 v2, v5, v2
	v_dual_sub_f32 v3, v3, v6 :: v_dual_mul_f32 v6, 0.5, v7
	s_delay_alu instid0(VALU_DEP_3) | instskip(SKIP_1) | instid1(VALU_DEP_4)
	v_add_co_u32 v0, s0, s4, v0
	s_wait_alu 0xf1ff
	v_add_co_ci_u32_e64 v1, s0, s5, v1, s0
	s_delay_alu instid0(VALU_DEP_3) | instskip(SKIP_3) | instid1(VALU_DEP_1)
	v_mul_f32_e32 v3, 0.5, v3
	global_load_b64 v[0:1], v[0:1], off offset:2048
	s_wait_loadcnt 0x0
	v_dual_mul_f32 v7, 0.5, v8 :: v_dual_mul_f32 v8, v1, v6
	v_fma_f32 v9, v7, v1, v3
	v_fma_f32 v1, v7, v1, -v3
	s_delay_alu instid0(VALU_DEP_3) | instskip(SKIP_1) | instid1(VALU_DEP_4)
	v_fma_f32 v5, 0.5, v2, v8
	v_fma_f32 v2, v2, 0.5, -v8
	v_fma_f32 v3, -v0, v6, v9
	s_delay_alu instid0(VALU_DEP_4)
	v_fma_f32 v8, -v0, v6, v1
	ds_store_b32 v30, v3 offset:4
	ds_store_b32 v4, v8 offset:2116
	v_fmac_f32_e32 v5, v0, v7
	v_fma_f32 v6, -v0, v7, v2
	v_dual_mov_b32 v0, v20 :: v_dual_mov_b32 v1, v21
                                        ; implicit-def: $vgpr2_vgpr3
.LBB0_22:
	s_wait_alu 0xfffe
	s_and_not1_saveexec_b32 s0, s1
	s_cbranch_execz .LBB0_24
; %bb.23:
	s_wait_dscnt 0x0
	v_dual_mov_b32 v0, 0 :: v_dual_add_f32 v5, v2, v3
	ds_store_b32 v30, v0 offset:4
	ds_store_b32 v4, v0 offset:2116
	ds_load_b32 v0, v31 offset:1060
	v_sub_f32_e32 v6, v2, v3
	s_wait_dscnt 0x0
	v_xor_b32_e32 v7, 0x80000000, v0
	v_mov_b32_e32 v0, 0
	v_mov_b32_e32 v1, 0
	ds_store_b32 v31, v7 offset:1060
.LBB0_24:
	s_wait_alu 0xfffe
	s_or_b32 exec_lo, exec_lo, s0
	v_mov_b32_e32 v26, 0
	v_lshlrev_b64_e32 v[0:1], 3, v[0:1]
	s_wait_dscnt 0x0
	s_delay_alu instid0(VALU_DEP_2) | instskip(SKIP_1) | instid1(VALU_DEP_1)
	v_lshlrev_b64_e32 v[2:3], 3, v[25:26]
	v_mov_b32_e32 v25, v26
	v_lshlrev_b64_e32 v[7:8], 3, v[24:25]
	s_delay_alu instid0(VALU_DEP_3) | instskip(SKIP_1) | instid1(VALU_DEP_4)
	v_add_co_u32 v2, s0, s4, v2
	s_wait_alu 0xf1ff
	v_add_co_ci_u32_e64 v3, s0, s5, v3, s0
	s_delay_alu instid0(VALU_DEP_3)
	v_add_co_u32 v7, s0, s4, v7
	global_load_b64 v[2:3], v[2:3], off offset:2048
	s_wait_alu 0xf1ff
	v_add_co_ci_u32_e64 v8, s0, s5, v8, s0
	s_add_nc_u64 s[0:1], s[4:5], 0x800
	s_wait_alu 0xfffe
	v_add_co_u32 v9, s0, s0, v0
	global_load_b64 v[7:8], v[7:8], off offset:2048
	s_wait_alu 0xf1ff
	v_add_co_ci_u32_e64 v10, s0, s1, v1, s0
	global_load_b64 v[9:10], v[9:10], off offset:792
	ds_store_b32 v30, v5
	ds_store_b32 v4, v6 offset:2112
	ds_load_b64 v[5:6], v32
	ds_load_b64 v[11:12], v4 offset:1848
	s_wait_dscnt 0x0
	v_dual_sub_f32 v13, v5, v11 :: v_dual_add_f32 v14, v6, v12
	v_dual_add_f32 v5, v5, v11 :: v_dual_sub_f32 v6, v6, v12
	s_delay_alu instid0(VALU_DEP_2) | instskip(SKIP_1) | instid1(VALU_DEP_1)
	v_dual_mul_f32 v12, 0.5, v13 :: v_dual_mul_f32 v13, 0.5, v14
	s_wait_loadcnt 0x2
	v_dual_mul_f32 v6, 0.5, v6 :: v_dual_mul_f32 v11, v3, v12
	s_delay_alu instid0(VALU_DEP_1) | instskip(SKIP_1) | instid1(VALU_DEP_3)
	v_fma_f32 v14, v13, v3, v6
	v_fma_f32 v3, v13, v3, -v6
	v_fma_f32 v6, 0.5, v5, v11
	v_fma_f32 v5, v5, 0.5, -v11
	s_delay_alu instid0(VALU_DEP_4) | instskip(NEXT) | instid1(VALU_DEP_4)
	v_fma_f32 v11, -v2, v12, v14
	v_fma_f32 v3, -v2, v12, v3
	v_lshl_add_u32 v12, v24, 3, v31
	v_fmac_f32_e32 v6, v2, v13
	v_fma_f32 v2, -v2, v13, v5
	ds_store_2addr_b32 v32, v6, v11 offset1:1
	ds_store_b64 v4, v[2:3] offset:1848
	ds_load_b64 v[2:3], v12
	ds_load_b64 v[5:6], v4 offset:1584
	s_wait_dscnt 0x0
	v_sub_f32_e32 v11, v2, v5
	v_add_f32_e32 v13, v3, v6
	v_dual_sub_f32 v3, v3, v6 :: v_dual_add_f32 v2, v2, v5
	s_delay_alu instid0(VALU_DEP_2) | instskip(NEXT) | instid1(VALU_DEP_2)
	v_dual_mul_f32 v6, 0.5, v11 :: v_dual_mul_f32 v11, 0.5, v13
	v_mul_f32_e32 v3, 0.5, v3
	s_wait_loadcnt 0x1
	s_delay_alu instid0(VALU_DEP_2) | instskip(NEXT) | instid1(VALU_DEP_2)
	v_mul_f32_e32 v5, v8, v6
	v_fma_f32 v13, v11, v8, v3
	v_fma_f32 v3, v11, v8, -v3
	s_delay_alu instid0(VALU_DEP_3) | instskip(NEXT) | instid1(VALU_DEP_2)
	v_fma_f32 v8, 0.5, v2, v5
	v_fma_f32 v3, -v7, v6, v3
	s_delay_alu instid0(VALU_DEP_2) | instskip(SKIP_2) | instid1(VALU_DEP_2)
	v_fmac_f32_e32 v8, v7, v11
	v_fma_f32 v2, v2, 0.5, -v5
	v_fma_f32 v5, -v7, v6, v13
	v_fma_f32 v2, -v7, v11, v2
	ds_store_2addr_b32 v12, v8, v5 offset1:1
	ds_store_b64 v4, v[2:3] offset:1584
	ds_load_b64 v[2:3], v30 offset:792
	ds_load_b64 v[5:6], v4 offset:1320
	s_wait_dscnt 0x0
	v_dual_sub_f32 v7, v2, v5 :: v_dual_add_f32 v8, v3, v6
	v_dual_sub_f32 v3, v3, v6 :: v_dual_add_f32 v2, v2, v5
	s_delay_alu instid0(VALU_DEP_2) | instskip(NEXT) | instid1(VALU_DEP_2)
	v_dual_mul_f32 v6, 0.5, v7 :: v_dual_mul_f32 v7, 0.5, v8
	v_mul_f32_e32 v3, 0.5, v3
	s_wait_loadcnt 0x0
	s_delay_alu instid0(VALU_DEP_2) | instskip(NEXT) | instid1(VALU_DEP_2)
	v_mul_f32_e32 v5, v10, v6
	v_fma_f32 v8, v7, v10, v3
	v_fma_f32 v3, v7, v10, -v3
	s_delay_alu instid0(VALU_DEP_3) | instskip(NEXT) | instid1(VALU_DEP_2)
	v_fma_f32 v10, 0.5, v2, v5
	v_fma_f32 v3, -v9, v6, v3
	s_delay_alu instid0(VALU_DEP_2) | instskip(SKIP_2) | instid1(VALU_DEP_2)
	v_fmac_f32_e32 v10, v9, v7
	v_fma_f32 v2, v2, 0.5, -v5
	v_fma_f32 v5, -v9, v6, v8
	v_fma_f32 v2, -v9, v7, v2
	ds_store_2addr_b32 v30, v10, v5 offset0:198 offset1:199
	ds_store_b64 v4, v[2:3] offset:1320
	global_wb scope:SCOPE_SE
	s_wait_dscnt 0x0
	s_barrier_signal -1
	s_barrier_wait -1
	global_inv scope:SCOPE_SE
	s_and_saveexec_b32 s0, vcc_lo
	s_cbranch_execz .LBB0_27
; %bb.25:
	ds_load_2addr_b64 v[4:7], v30 offset1:33
	ds_load_2addr_b64 v[8:11], v30 offset0:66 offset1:99
	ds_load_2addr_b64 v[12:15], v30 offset0:132 offset1:165
	;; [unrolled: 1-line block ×3, first 2 shown]
	v_add_co_u32 v2, vcc_lo, s8, v22
	s_wait_alu 0xfffd
	v_add_co_ci_u32_e32 v3, vcc_lo, s9, v23, vcc_lo
	s_delay_alu instid0(VALU_DEP_2) | instskip(SKIP_1) | instid1(VALU_DEP_2)
	v_add_co_u32 v0, vcc_lo, v2, v0
	s_wait_alu 0xfffd
	v_add_co_ci_u32_e32 v1, vcc_lo, v3, v1, vcc_lo
	v_cmp_eq_u32_e32 vcc_lo, 32, v20
	s_wait_dscnt 0x3
	s_clause 0x1
	global_store_b64 v[0:1], v[4:5], off
	global_store_b64 v[0:1], v[6:7], off offset:264
	s_wait_dscnt 0x2
	s_clause 0x1
	global_store_b64 v[0:1], v[8:9], off offset:528
	global_store_b64 v[0:1], v[10:11], off offset:792
	s_wait_dscnt 0x1
	s_clause 0x1
	global_store_b64 v[0:1], v[12:13], off offset:1056
	;; [unrolled: 4-line block ×3, first 2 shown]
	global_store_b64 v[0:1], v[18:19], off offset:1848
	s_and_b32 exec_lo, exec_lo, vcc_lo
	s_cbranch_execz .LBB0_27
; %bb.26:
	ds_load_b64 v[0:1], v30 offset:1856
	s_wait_dscnt 0x0
	global_store_b64 v[2:3], v[0:1], off offset:2112
.LBB0_27:
	s_nop 0
	s_sendmsg sendmsg(MSG_DEALLOC_VGPRS)
	s_endpgm
	.section	.rodata,"a",@progbits
	.p2align	6, 0x0
	.amdhsa_kernel fft_rtc_fwd_len264_factors_8_3_11_wgs_231_tpt_33_sp_ip_CI_unitstride_sbrr_R2C_dirReg
		.amdhsa_group_segment_fixed_size 0
		.amdhsa_private_segment_fixed_size 0
		.amdhsa_kernarg_size 88
		.amdhsa_user_sgpr_count 2
		.amdhsa_user_sgpr_dispatch_ptr 0
		.amdhsa_user_sgpr_queue_ptr 0
		.amdhsa_user_sgpr_kernarg_segment_ptr 1
		.amdhsa_user_sgpr_dispatch_id 0
		.amdhsa_user_sgpr_private_segment_size 0
		.amdhsa_wavefront_size32 1
		.amdhsa_uses_dynamic_stack 0
		.amdhsa_enable_private_segment 0
		.amdhsa_system_sgpr_workgroup_id_x 1
		.amdhsa_system_sgpr_workgroup_id_y 0
		.amdhsa_system_sgpr_workgroup_id_z 0
		.amdhsa_system_sgpr_workgroup_info 0
		.amdhsa_system_vgpr_workitem_id 0
		.amdhsa_next_free_vgpr 129
		.amdhsa_next_free_sgpr 32
		.amdhsa_reserve_vcc 1
		.amdhsa_float_round_mode_32 0
		.amdhsa_float_round_mode_16_64 0
		.amdhsa_float_denorm_mode_32 3
		.amdhsa_float_denorm_mode_16_64 3
		.amdhsa_fp16_overflow 0
		.amdhsa_workgroup_processor_mode 1
		.amdhsa_memory_ordered 1
		.amdhsa_forward_progress 0
		.amdhsa_round_robin_scheduling 0
		.amdhsa_exception_fp_ieee_invalid_op 0
		.amdhsa_exception_fp_denorm_src 0
		.amdhsa_exception_fp_ieee_div_zero 0
		.amdhsa_exception_fp_ieee_overflow 0
		.amdhsa_exception_fp_ieee_underflow 0
		.amdhsa_exception_fp_ieee_inexact 0
		.amdhsa_exception_int_div_zero 0
	.end_amdhsa_kernel
	.text
.Lfunc_end0:
	.size	fft_rtc_fwd_len264_factors_8_3_11_wgs_231_tpt_33_sp_ip_CI_unitstride_sbrr_R2C_dirReg, .Lfunc_end0-fft_rtc_fwd_len264_factors_8_3_11_wgs_231_tpt_33_sp_ip_CI_unitstride_sbrr_R2C_dirReg
                                        ; -- End function
	.section	.AMDGPU.csdata,"",@progbits
; Kernel info:
; codeLenInByte = 6580
; NumSgprs: 34
; NumVgprs: 129
; ScratchSize: 0
; MemoryBound: 0
; FloatMode: 240
; IeeeMode: 1
; LDSByteSize: 0 bytes/workgroup (compile time only)
; SGPRBlocks: 4
; VGPRBlocks: 16
; NumSGPRsForWavesPerEU: 34
; NumVGPRsForWavesPerEU: 129
; Occupancy: 10
; WaveLimiterHint : 1
; COMPUTE_PGM_RSRC2:SCRATCH_EN: 0
; COMPUTE_PGM_RSRC2:USER_SGPR: 2
; COMPUTE_PGM_RSRC2:TRAP_HANDLER: 0
; COMPUTE_PGM_RSRC2:TGID_X_EN: 1
; COMPUTE_PGM_RSRC2:TGID_Y_EN: 0
; COMPUTE_PGM_RSRC2:TGID_Z_EN: 0
; COMPUTE_PGM_RSRC2:TIDIG_COMP_CNT: 0
	.text
	.p2alignl 7, 3214868480
	.fill 96, 4, 3214868480
	.type	__hip_cuid_1cf1fe7de9454f17,@object ; @__hip_cuid_1cf1fe7de9454f17
	.section	.bss,"aw",@nobits
	.globl	__hip_cuid_1cf1fe7de9454f17
__hip_cuid_1cf1fe7de9454f17:
	.byte	0                               ; 0x0
	.size	__hip_cuid_1cf1fe7de9454f17, 1

	.ident	"AMD clang version 19.0.0git (https://github.com/RadeonOpenCompute/llvm-project roc-6.4.0 25133 c7fe45cf4b819c5991fe208aaa96edf142730f1d)"
	.section	".note.GNU-stack","",@progbits
	.addrsig
	.addrsig_sym __hip_cuid_1cf1fe7de9454f17
	.amdgpu_metadata
---
amdhsa.kernels:
  - .args:
      - .actual_access:  read_only
        .address_space:  global
        .offset:         0
        .size:           8
        .value_kind:     global_buffer
      - .offset:         8
        .size:           8
        .value_kind:     by_value
      - .actual_access:  read_only
        .address_space:  global
        .offset:         16
        .size:           8
        .value_kind:     global_buffer
      - .actual_access:  read_only
        .address_space:  global
        .offset:         24
        .size:           8
        .value_kind:     global_buffer
      - .offset:         32
        .size:           8
        .value_kind:     by_value
      - .actual_access:  read_only
        .address_space:  global
        .offset:         40
        .size:           8
        .value_kind:     global_buffer
      - .actual_access:  read_only
        .address_space:  global
        .offset:         48
        .size:           8
        .value_kind:     global_buffer
      - .offset:         56
        .size:           4
        .value_kind:     by_value
      - .actual_access:  read_only
        .address_space:  global
        .offset:         64
        .size:           8
        .value_kind:     global_buffer
      - .actual_access:  read_only
        .address_space:  global
        .offset:         72
        .size:           8
        .value_kind:     global_buffer
      - .address_space:  global
        .offset:         80
        .size:           8
        .value_kind:     global_buffer
    .group_segment_fixed_size: 0
    .kernarg_segment_align: 8
    .kernarg_segment_size: 88
    .language:       OpenCL C
    .language_version:
      - 2
      - 0
    .max_flat_workgroup_size: 231
    .name:           fft_rtc_fwd_len264_factors_8_3_11_wgs_231_tpt_33_sp_ip_CI_unitstride_sbrr_R2C_dirReg
    .private_segment_fixed_size: 0
    .sgpr_count:     34
    .sgpr_spill_count: 0
    .symbol:         fft_rtc_fwd_len264_factors_8_3_11_wgs_231_tpt_33_sp_ip_CI_unitstride_sbrr_R2C_dirReg.kd
    .uniform_work_group_size: 1
    .uses_dynamic_stack: false
    .vgpr_count:     129
    .vgpr_spill_count: 0
    .wavefront_size: 32
    .workgroup_processor_mode: 1
amdhsa.target:   amdgcn-amd-amdhsa--gfx1201
amdhsa.version:
  - 1
  - 2
...

	.end_amdgpu_metadata
